;; amdgpu-corpus repo=zjin-lcf/HeCBench kind=compiled arch=gfx1250 opt=O3
	.amdgcn_target "amdgcn-amd-amdhsa--gfx1250"
	.amdhsa_code_object_version 6
	.text
	.protected	_Z11toneMappingPKfPfffffjjj ; -- Begin function _Z11toneMappingPKfPfffffjjj
	.globl	_Z11toneMappingPKfPfffffjjj
	.p2align	8
	.type	_Z11toneMappingPKfPfffffjjj,@function
_Z11toneMappingPKfPfffffjjj:            ; @_Z11toneMappingPKfPfffffjjj
; %bb.0:
	s_clause 0x1
	s_load_b32 s2, s[0:1], 0x3c
	s_load_b96 s[4:6], s[0:1], 0x20
	s_bfe_u32 s7, ttmp6, 0x4000c
	s_bfe_u32 s8, ttmp6, 0x40010
	s_add_co_i32 s7, s7, 1
	s_add_co_i32 s8, s8, 1
	s_and_b32 s3, ttmp6, 15
	s_bfe_u32 s9, ttmp6, 0x40004
	s_mul_i32 s7, ttmp9, s7
	s_mul_i32 s8, ttmp7, s8
	s_getreg_b32 s10, hwreg(HW_REG_IB_STS2, 6, 4)
	v_bfe_u32 v1, v0, 10, 10
	v_and_b32_e32 v0, 0x3ff, v0
	s_add_co_i32 s3, s3, s7
	s_add_co_i32 s9, s9, s8
	s_load_b256 s[12:19], s[0:1], 0x0
	v_mov_b64_e32 v[14:15], 0x3d93dd983e59b3d0
	v_mov_b32_e32 v7, 0
	s_wait_kmcnt 0x0
	s_and_b32 s7, s2, 0xffff
	s_lshr_b32 s2, s2, 16
	s_cmp_eq_u32 s10, 0
	s_cselect_b32 s8, ttmp7, s9
	s_cselect_b32 s3, ttmp9, s3
	v_mad_u32 v12, s8, s2, v1
	v_mad_u32 v13, s3, s7, v0
	s_mul_i32 s3, s5, s4
	s_add_co_i32 s1, s4, -1
	s_add_co_i32 s2, s6, -1
	s_delay_alu instid0(VALU_DEP_2) | instskip(NEXT) | instid1(VALU_DEP_2)
	v_mul_lo_u32 v9, v12, s3
	v_mul_lo_u32 v8, v13, s5
	v_cmp_ne_u32_e32 vcc_lo, 0, v13
	v_cmp_ne_u32_e64 s0, 0, v12
	v_cmp_ne_u32_e64 s1, s1, v13
	;; [unrolled: 1-line block ×3, first 2 shown]
	s_and_b32 s0, vcc_lo, s0
	s_delay_alu instid0(SALU_CYCLE_1) | instskip(SKIP_2) | instid1(VALU_DEP_1)
	s_and_b32 s0, s1, s0
	v_add_nc_u32_e32 v6, v9, v8
	s_and_b32 s1, s2, s0
	v_dual_add_nc_u32 v0, 2, v6 :: v_dual_add_nc_u32 v2, 1, v6
	s_clause 0x2
	global_load_b32 v4, v6, s[12:13] scale_offset
	global_load_b32 v5, v0, s[12:13] scale_offset
	;; [unrolled: 1-line block ×3, first 2 shown]
	s_wait_loadcnt 0x1
	v_pk_mul_f32 v[14:15], v[4:5], v[14:15]
	s_wait_loadcnt 0x0
	s_delay_alu instid0(VALU_DEP_1) | instskip(NEXT) | instid1(VALU_DEP_1)
	v_fmamk_f32 v1, v10, 0x3f371759, v14
	v_dual_mov_b32 v3, v7 :: v_dual_add_f32 v11, v1, v15
	s_delay_alu instid0(VALU_DEP_1)
	v_dual_mov_b32 v1, v7 :: v_dual_mov_b32 v14, v11
	s_and_saveexec_b32 s0, s1
	s_cbranch_execz .LBB0_2
; %bb.1:
	v_subrev_nc_u32_e32 v14, s3, v9
	v_subrev_nc_u32_e32 v18, s5, v8
	v_mad_u32 v26, s5, v13, s5
	v_mad_u32 v27, s3, v12, s3
	s_mov_b32 s2, 0x3d93dd98
	s_delay_alu instid0(VALU_DEP_3) | instskip(SKIP_1) | instid1(VALU_DEP_2)
	v_dual_add_nc_u32 v22, v14, v8 :: v_dual_add_nc_u32 v20, v14, v18
	v_add_nc_u32_e32 v23, v9, v18
	v_dual_add_nc_u32 v28, 1, v22 :: v_dual_add_nc_u32 v25, 2, v20
	v_dual_add_nc_u32 v24, 1, v20 :: v_dual_add_nc_u32 v31, v14, v26
	s_delay_alu instid0(VALU_DEP_3)
	v_dual_add_nc_u32 v29, 2, v22 :: v_dual_add_nc_u32 v30, 1, v23
	s_clause 0x7
	global_load_b32 v12, v20, s[12:13] scale_offset
	global_load_b32 v14, v24, s[12:13] scale_offset
	;; [unrolled: 1-line block ×8, first 2 shown]
	s_wait_xcnt 0x3
	v_dual_add_nc_u32 v25, 2, v23 :: v_dual_add_nc_u32 v28, v27, v18
	s_wait_xcnt 0x2
	v_add_nc_u32_e32 v29, 1, v31
	global_load_b32 v20, v31, s[12:13] scale_offset
	s_wait_xcnt 0x1
	v_dual_add_nc_u32 v30, 2, v31 :: v_dual_add_nc_u32 v9, v9, v26
	s_wait_xcnt 0x0
	v_add_nc_u32_e32 v31, 1, v28
	s_clause 0x3
	global_load_b32 v23, v25, s[12:13] scale_offset
	global_load_b32 v18, v29, s[12:13] scale_offset
	;; [unrolled: 1-line block ×4, first 2 shown]
	v_dual_add_nc_u32 v34, v27, v26 :: v_dual_add_nc_u32 v32, v27, v8
	s_wait_xcnt 0x2
	v_add_nc_u32_e32 v29, 1, v9
	global_load_b32 v25, v31, s[12:13] scale_offset
	s_wait_xcnt 0x0
	v_dual_add_nc_u32 v30, 2, v9 :: v_dual_add_nc_u32 v31, 2, v28
	v_add_nc_u32_e32 v33, 1, v34
	s_clause 0x1
	global_load_b32 v8, v29, s[12:13] scale_offset
	global_load_b32 v9, v28, s[12:13] scale_offset
	v_add_nc_u32_e32 v37, 2, v34
	s_clause 0x3
	global_load_b32 v26, v30, s[12:13] scale_offset
	global_load_b32 v27, v31, s[12:13] scale_offset
	global_load_b32 v28, v32, s[12:13] scale_offset
	global_load_b32 v29, v33, s[12:13] scale_offset
	v_dual_add_nc_u32 v35, 1, v32 :: v_dual_add_nc_u32 v36, 2, v32
	s_clause 0x3
	global_load_b32 v31, v34, s[12:13] scale_offset
	global_load_b32 v30, v35, s[12:13] scale_offset
	;; [unrolled: 1-line block ×4, first 2 shown]
	s_wait_xcnt 0x2
	v_mov_b64_e32 v[34:35], 0x3f3717593e59b3d0
	s_wait_xcnt 0x0
	v_mov_b64_e32 v[36:37], 0x3e59b3d03f371759
	s_wait_loadcnt 0x13
	s_delay_alu instid0(VALU_DEP_2) | instskip(NEXT) | instid1(VALU_DEP_1)
	v_pk_mul_f32 v[12:13], v[12:13], v[34:35]
	v_pk_fma_f32 v[12:13], v[14:15], v[36:37], v[12:13]
	s_wait_loadcnt 0xf
	v_pk_mul_f32 v[20:21], v[20:21], v[34:35]
	s_delay_alu instid0(VALU_DEP_2) | instskip(SKIP_1) | instid1(VALU_DEP_2)
	v_pk_fma_f32 v[12:13], v[16:17], s[2:3], v[12:13] op_sel_hi:[1,0,1]
	s_wait_loadcnt 0xd
	v_pk_fma_f32 v[14:15], v[18:19], v[36:37], v[20:21]
	s_wait_loadcnt 0xa
	v_pk_mul_f32 v[16:17], v[24:25], v[34:35]
	s_delay_alu instid0(VALU_DEP_2) | instskip(SKIP_2) | instid1(VALU_DEP_3)
	v_pk_fma_f32 v[14:15], v[22:23], s[2:3], v[14:15] op_sel_hi:[1,0,1]
	v_add_f32_e32 v12, v12, v13
	s_wait_loadcnt 0x8
	v_pk_fma_f32 v[8:9], v[8:9], v[36:37], v[16:17]
	s_delay_alu instid0(VALU_DEP_2) | instskip(SKIP_2) | instid1(VALU_DEP_3)
	v_add_f32_e32 v14, v12, v14
	s_wait_loadcnt 0x4
	v_pk_mul_f32 v[12:13], v[28:29], v[34:35]
	v_pk_fma_f32 v[8:9], v[26:27], s[2:3], v[8:9] op_sel_hi:[1,0,1]
	s_delay_alu instid0(VALU_DEP_3) | instskip(SKIP_1) | instid1(VALU_DEP_3)
	v_add_f32_e32 v14, v14, v15
	s_wait_loadcnt 0x2
	v_pk_fma_f32 v[12:13], v[30:31], v[36:37], v[12:13]
	s_delay_alu instid0(VALU_DEP_2) | instskip(SKIP_1) | instid1(VALU_DEP_2)
	v_add_f32_e32 v8, v14, v8
	s_wait_loadcnt 0x0
	v_pk_fma_f32 v[12:13], v[32:33], s[2:3], v[12:13] op_sel_hi:[1,0,1]
	s_delay_alu instid0(VALU_DEP_2) | instskip(NEXT) | instid1(VALU_DEP_1)
	v_add_f32_e32 v8, v8, v9
	v_add_f32_e32 v8, v8, v12
	s_delay_alu instid0(VALU_DEP_1) | instskip(NEXT) | instid1(VALU_DEP_1)
	v_add_f32_e32 v8, v8, v13
	v_mul_f32_e32 v14, 0x3e000000, v8
.LBB0_2:
	s_or_b32 exec_lo, exec_lo, s0
	s_delay_alu instid0(VALU_DEP_1) | instskip(SKIP_2) | instid1(VALU_DEP_3)
	v_div_scale_f32 v8, null, v11, v11, v14
	v_div_scale_f32 v13, vcc_lo, v14, v11, v14
	v_div_scale_f32 v19, null, v11, v11, v5
	v_rcp_f32_e32 v9, v8
	v_div_scale_f32 v22, s0, v4, v11, v4
	s_delay_alu instid0(VALU_DEP_2) | instskip(SKIP_2) | instid1(TRANS32_DEP_2)
	v_rcp_f32_e32 v17, v19
	v_div_scale_f32 v23, s1, v10, v11, v10
	v_div_scale_f32 v24, s2, v5, v11, v5
	v_fma_f32 v12, -v8, v9, 1.0
	v_lshl_add_u64 v[2:3], v[2:3], 2, s[14:15]
	s_delay_alu instid0(TRANS32_DEP_1) | instskip(SKIP_1) | instid1(VALU_DEP_4)
	v_fma_f32 v25, -v19, v17, 1.0
	v_lshl_add_u64 v[0:1], v[0:1], 2, s[14:15]
	v_fmac_f32_e32 v9, v12, v9
	s_delay_alu instid0(VALU_DEP_3) | instskip(NEXT) | instid1(VALU_DEP_2)
	v_fmac_f32_e32 v17, v25, v17
	v_mul_f32_e32 v12, v13, v9
	s_delay_alu instid0(VALU_DEP_1) | instskip(NEXT) | instid1(VALU_DEP_1)
	v_fma_f32 v15, -v8, v12, v13
	v_fmac_f32_e32 v12, v15, v9
	s_delay_alu instid0(VALU_DEP_1) | instskip(NEXT) | instid1(VALU_DEP_1)
	v_fma_f32 v8, -v8, v12, v13
	v_div_fmas_f32 v8, v8, v9, v12
	s_delay_alu instid0(VALU_DEP_1) | instskip(NEXT) | instid1(VALU_DEP_1)
	v_div_fixup_f32 v8, v8, v11, v14
	v_add_f32_e32 v8, s19, v8
	s_delay_alu instid0(VALU_DEP_1) | instskip(SKIP_2) | instid1(VALU_DEP_2)
	v_cmp_gt_f32_e32 vcc_lo, 0x800000, v8
	v_cndmask_b32_e64 v9, 0, 32, vcc_lo
	v_cndmask_b32_e64 v12, 0, 0x41b17218, vcc_lo
	v_ldexp_f32 v8, v8, v9
	s_delay_alu instid0(VALU_DEP_1) | instskip(SKIP_1) | instid1(TRANS32_DEP_1)
	v_log_f32_e32 v8, v8
	v_nop
	v_mul_f32_e32 v9, 0x3f317217, v8
	v_cmp_gt_f32_e64 vcc_lo, 0x7f800000, |v8|
	s_delay_alu instid0(VALU_DEP_2) | instskip(NEXT) | instid1(VALU_DEP_1)
	v_fma_f32 v9, 0x3f317217, v8, -v9
	v_fmamk_f32 v9, v8, 0x3377d1cf, v9
	s_delay_alu instid0(VALU_DEP_1) | instskip(NEXT) | instid1(VALU_DEP_1)
	v_fmac_f32_e32 v9, 0x3f317217, v8
	v_cndmask_b32_e32 v8, v8, v9, vcc_lo
	s_delay_alu instid0(VALU_DEP_1) | instskip(SKIP_1) | instid1(VALU_DEP_2)
	v_sub_f32_e32 v8, v8, v12
	v_div_scale_f32 v12, null, v11, v11, v4
	v_mul_f32_e32 v8, v14, v8
	s_delay_alu instid0(VALU_DEP_2) | instskip(SKIP_1) | instid1(VALU_DEP_2)
	v_rcp_f32_e32 v15, v12
	v_div_scale_f32 v14, null, v11, v11, v10
	v_fmac_f32_e64 v8, s16, s18
	s_mov_b32 s18, 0x3e76c4e1
	s_delay_alu instid0(VALU_DEP_2) | instskip(NEXT) | instid1(VALU_DEP_1)
	v_rcp_f32_e32 v18, v14
	v_add_f32_e32 v13, v11, v8
	s_delay_alu instid0(TRANS32_DEP_2) | instskip(NEXT) | instid1(TRANS32_DEP_1)
	v_fma_f32 v8, -v12, v15, 1.0
	v_fma_f32 v9, -v14, v18, 1.0
	s_delay_alu instid0(VALU_DEP_2) | instskip(NEXT) | instid1(VALU_DEP_4)
	v_fmac_f32_e32 v15, v8, v15
	v_div_scale_f32 v20, null, v13, v13, v11
	v_div_scale_f32 v28, vcc_lo, v11, v13, v11
	s_delay_alu instid0(VALU_DEP_4) | instskip(NEXT) | instid1(VALU_DEP_3)
	v_fmac_f32_e32 v18, v9, v18
	v_rcp_f32_e32 v21, v20
	v_lshl_add_u64 v[8:9], v[6:7], 2, s[14:15]
	s_delay_alu instid0(VALU_DEP_2) | instskip(SKIP_1) | instid1(TRANS32_DEP_1)
	v_dual_mul_f32 v26, v22, v15 :: v_dual_mul_f32 v27, v23, v18
	v_mul_f32_e32 v25, v24, v17
	v_fma_f32 v16, -v20, v21, 1.0
	s_delay_alu instid0(VALU_DEP_2) | instskip(NEXT) | instid1(VALU_DEP_2)
	v_dual_fma_f32 v31, -v14, v27, v23 :: v_dual_fma_f32 v32, -v19, v25, v24
	v_fmac_f32_e32 v21, v16, v21
	v_fma_f32 v16, -v12, v26, v22
	s_delay_alu instid0(VALU_DEP_3) | instskip(NEXT) | instid1(VALU_DEP_3)
	v_dual_fmac_f32 v27, v31, v18 :: v_dual_fmac_f32 v25, v32, v17
	v_mul_f32_e32 v29, v28, v21
	s_delay_alu instid0(VALU_DEP_1) | instskip(NEXT) | instid1(VALU_DEP_4)
	v_fma_f32 v30, -v20, v29, v28
	v_dual_fmac_f32 v26, v16, v15 :: v_dual_add_nc_u32 v16, 3, v6
	s_delay_alu instid0(VALU_DEP_1) | instskip(SKIP_1) | instid1(VALU_DEP_2)
	v_dual_fmac_f32 v29, v30, v21 :: v_dual_fma_f32 v6, -v12, v26, v22
	v_dual_fma_f32 v12, -v14, v27, v23 :: v_dual_fma_f32 v14, -v19, v25, v24
	v_fma_f32 v7, -v20, v29, v28
	s_delay_alu instid0(VALU_DEP_1)
	v_div_fmas_f32 v7, v7, v21, v29
	s_mov_b32 vcc_lo, s0
	v_div_fmas_f32 v6, v6, v15, v26
	s_mov_b32 vcc_lo, s1
	;; [unrolled: 2-line block ×3, first 2 shown]
	s_delay_alu instid0(VALU_DEP_2)
	v_div_fixup_f32 v4, v6, v11, v4
	v_div_fmas_f32 v14, v14, v17, v25
	v_div_fixup_f32 v18, v7, v13, v11
	v_div_fixup_f32 v6, v12, v11, v10
	global_load_b32 v17, v16, s[12:13] scale_offset
	v_cmp_neq_f32_e32 vcc_lo, 1.0, v4
	v_div_fixup_f32 v5, v14, v11, v5
	v_cndmask_b32_e64 v19, 1.0, s17, vcc_lo
	v_cmp_neq_f32_e32 vcc_lo, 1.0, v6
	s_delay_alu instid0(VALU_DEP_2)
	v_trunc_f32_e32 v7, v19
	v_cndmask_b32_e64 v20, 1.0, s17, vcc_lo
	v_cmp_neq_f32_e32 vcc_lo, 1.0, v5
	v_mul_f32_e32 v29, 0.5, v19
	v_cmp_neq_f32_e64 s7, v19, |v19|
	v_cmp_eq_f32_e64 s0, v7, v19
	v_trunc_f32_e32 v10, v20
	v_cndmask_b32_e64 v21, 1.0, s17, vcc_lo
	v_cmp_neq_f32_e32 vcc_lo, 0, v19
	v_trunc_f32_e32 v43, v29
	v_mul_f32_e32 v42, 0.5, v20
	v_cmp_eq_f32_e64 s2, v10, v20
	v_trunc_f32_e32 v14, v21
	v_cndmask_b32_e32 v22, 1.0, v4, vcc_lo
	v_cmp_neq_f32_e32 vcc_lo, 0, v20
	v_cmp_neq_f32_e64 s8, v43, v29
	v_trunc_f32_e32 v44, v42
	v_cmp_eq_f32_e64 s3, v14, v21
	v_frexp_mant_f32_e64 v11, |v22|
	v_cndmask_b32_e32 v23, 1.0, v6, vcc_lo
	v_cmp_neq_f32_e32 vcc_lo, 0, v21
	v_cmp_lt_f32_e64 s23, |v22|, 1.0
	v_cmp_gt_f32_e64 s6, 0, v20
	v_cmp_gt_f32_e64 s10, 0x3f2aaaab, v11
	v_frexp_mant_f32_e64 v12, |v23|
	v_cvt_f64_f32_e64 v[6:7], |v23|
	s_xor_b32 s7, s7, s23
	v_cmp_eq_f32_e64 s1, 0, v23
	v_cndmask_b32_e64 v13, 1.0, 2.0, s10
	v_cmp_gt_f32_e64 s11, 0x3f2aaaab, v12
	v_cmp_gt_f32_e64 s5, 0, v21
	;; [unrolled: 1-line block ×3, first 2 shown]
	s_xor_b32 s6, s6, s1
	v_mul_f32_e32 v26, v11, v13
	v_cndmask_b32_e32 v24, 1.0, v5, vcc_lo
	v_cndmask_b32_e64 v11, 1.0, 2.0, s11
	v_mul_f32_e32 v25, 0.5, v21
	v_cvt_f64_f32_e64 v[4:5], |v22|
	v_add_f32_e32 v28, 1.0, v26
	v_frexp_mant_f32_e64 v10, |v24|
	v_mul_f32_e32 v31, v12, v11
	v_cmp_eq_f32_e64 s4, 0, v24
	v_cmp_eq_f32_e32 vcc_lo, 0, v22
	v_rcp_f32_e32 v45, v28
	s_wait_xcnt 0x0
	v_cmp_gt_f32_e64 s12, 0x3f2aaaab, v10
	v_cmp_neq_f32_e64 s20, v20, |v20|
	s_xor_b32 s5, s5, s4
	v_cmp_lt_f32_e64 s21, |v23|, 1.0
	s_xor_b32 s9, s9, vcc_lo
	v_cndmask_b32_e64 v13, 1.0, 2.0, s12
	v_cmp_neq_f32_e64 s19, v21, |v21|
	v_cmp_lt_f32_e64 s22, |v24|, 1.0
	v_cmp_class_f32_e64 s13, v22, 0x204
	v_cmp_class_f32_e64 s16, v23, 0x204
	v_dual_mul_f32 v10, v10, v13 :: v_dual_add_f32 v33, 1.0, v31
	v_dual_add_f32 v11, -1.0, v26 :: v_dual_add_f32 v15, -1.0, v31
	v_cvt_f64_f32_e64 v[12:13], |v24|
	s_delay_alu instid0(VALU_DEP_3) | instskip(NEXT) | instid1(VALU_DEP_4)
	v_add_f32_e32 v35, 1.0, v10
	v_rcp_f32_e32 v46, v33
	s_delay_alu instid0(VALU_DEP_3) | instskip(SKIP_1) | instid1(VALU_DEP_3)
	v_dual_mul_f32 v47, v11, v45 :: v_dual_add_f32 v27, -1.0, v10
	v_add_f32_e32 v14, -1.0, v28
	v_rcp_f32_e32 v48, v35
	s_delay_alu instid0(VALU_DEP_2) | instskip(NEXT) | instid1(TRANS32_DEP_2)
	v_dual_add_f32 v37, -1.0, v33 :: v_dual_mul_f32 v30, v28, v47
	v_mul_f32_e32 v49, v15, v46
	s_delay_alu instid0(VALU_DEP_3) | instskip(NEXT) | instid1(VALU_DEP_3)
	v_dual_sub_f32 v14, v26, v14 :: v_dual_add_f32 v26, -1.0, v35
	v_sub_f32_e32 v31, v31, v37
	s_delay_alu instid0(TRANS32_DEP_1) | instskip(NEXT) | instid1(VALU_DEP_4)
	v_mul_f32_e32 v50, v27, v48
	v_dual_fma_f32 v32, v47, v28, -v30 :: v_dual_mul_f32 v34, v33, v49
	v_frexp_exp_i32_f64_e32 v51, v[4:5]
	v_frexp_exp_i32_f64_e32 v52, v[6:7]
	s_delay_alu instid0(VALU_DEP_4) | instskip(NEXT) | instid1(VALU_DEP_4)
	v_mul_f32_e32 v36, v35, v50
	v_dual_fmac_f32 v32, v47, v14 :: v_dual_fma_f32 v38, v49, v33, -v34
	v_sub_f32_e32 v14, v10, v26
	v_trunc_f32_e32 v28, v25
	s_or_b32 vcc_lo, vcc_lo, s13
	s_delay_alu instid0(VALU_DEP_3) | instskip(SKIP_2) | instid1(VALU_DEP_3)
	v_dual_add_f32 v10, v30, v32 :: v_dual_fmac_f32 v38, v49, v31
	v_fma_f32 v40, v50, v35, -v36
	v_cmp_class_f32_e64 s17, v24, 0x204
	v_sub_f32_e32 v31, v11, v10
	s_delay_alu instid0(VALU_DEP_3) | instskip(SKIP_2) | instid1(VALU_DEP_4)
	v_fmac_f32_e32 v40, v50, v14
	v_add_f32_e32 v14, v34, v38
	v_frexp_exp_i32_f64_e32 v12, v[12:13]
	v_pk_add_f32 v[4:5], v[10:11], v[30:31] neg_lo:[0,1] neg_hi:[0,1]
	s_delay_alu instid0(VALU_DEP_3) | instskip(SKIP_1) | instid1(VALU_DEP_2)
	v_dual_sub_f32 v35, v15, v14 :: v_dual_add_f32 v26, v36, v40
	v_dual_mov_b32 v33, v10 :: v_dual_mov_b32 v39, v14
	v_pk_add_f32 v[6:7], v[14:15], v[34:35] neg_lo:[0,1] neg_hi:[0,1]
	s_delay_alu instid0(VALU_DEP_3) | instskip(NEXT) | instid1(VALU_DEP_3)
	v_sub_f32_e32 v37, v27, v26
	v_pk_add_f32 v[4:5], v[4:5], v[32:33] neg_lo:[0,1] neg_hi:[0,1]
	v_mov_b32_e32 v41, v26
	s_delay_alu instid0(VALU_DEP_3) | instskip(NEXT) | instid1(VALU_DEP_3)
	v_pk_add_f32 v[10:11], v[26:27], v[36:37] neg_lo:[0,1] neg_hi:[0,1]
	v_add_f32_e32 v13, v4, v5
	v_pk_add_f32 v[4:5], v[6:7], v[38:39] neg_lo:[0,1] neg_hi:[0,1]
	v_cndmask_b32_e64 v27, 0x7f800000, 0, s7
	v_cmp_neq_f32_e64 s7, v44, v42
	v_pk_add_f32 v[6:7], v[10:11], v[40:41] neg_lo:[0,1] neg_hi:[0,1]
	s_delay_alu instid0(VALU_DEP_4) | instskip(NEXT) | instid1(VALU_DEP_2)
	v_add_f32_e32 v4, v4, v5
	v_dual_add_f32 v10, v31, v13 :: v_dual_add_f32 v5, v6, v7
	v_subrev_co_ci_u32_e64 v7, null, 0, v51, s10
	s_delay_alu instid0(VALU_DEP_2) | instskip(NEXT) | instid1(VALU_DEP_3)
	v_dual_mul_f32 v6, v45, v10 :: v_dual_add_f32 v4, v35, v4
	v_add_f32_e32 v5, v37, v5
	v_subrev_co_ci_u32_e64 v10, null, 0, v52, s11
	s_delay_alu instid0(VALU_DEP_3) | instskip(NEXT) | instid1(VALU_DEP_3)
	v_dual_add_f32 v30, v47, v6 :: v_dual_mul_f32 v4, v46, v4
	v_mul_f32_e32 v5, v48, v5
	v_subrev_co_ci_u32_e64 v12, null, 0, v12, s12
	s_delay_alu instid0(VALU_DEP_3) | instskip(NEXT) | instid1(VALU_DEP_3)
	v_dual_sub_f32 v11, v30, v47 :: v_dual_add_f32 v32, v49, v4
	v_add_f32_e32 v34, v50, v5
	v_mul_f32_e32 v13, v30, v30
	v_cvt_f32_i32_e32 v7, v7
	s_delay_alu instid0(VALU_DEP_4) | instskip(NEXT) | instid1(VALU_DEP_4)
	v_dual_sub_f32 v29, v6, v11 :: v_dual_sub_f32 v6, v32, v49
	v_dual_mul_f32 v26, v32, v32 :: v_dual_mul_f32 v31, v34, v34
	v_cvt_f32_i32_e32 v33, v10
	v_cvt_f32_i32_e32 v44, v12
	s_delay_alu instid0(VALU_DEP_4) | instskip(SKIP_3) | instid1(VALU_DEP_3)
	v_sub_f32_e32 v56, v4, v6
	v_dual_sub_f32 v11, v34, v50 :: v_dual_add_f32 v15, v29, v29
	v_fma_f32 v14, v30, v30, -v13
	v_ldexp_f32 v51, v34, 1
	v_dual_add_f32 v4, v56, v56 :: v_dual_sub_f32 v5, v5, v11
	v_fma_f32 v11, v32, v32, -v26
	s_delay_alu instid0(VALU_DEP_4) | instskip(NEXT) | instid1(VALU_DEP_3)
	v_fmac_f32_e32 v14, v30, v15
	v_dual_fma_f32 v15, v34, v34, -v31 :: v_dual_add_f32 v6, v5, v5
	s_delay_alu instid0(VALU_DEP_2) | instskip(NEXT) | instid1(VALU_DEP_2)
	v_dual_fmac_f32 v11, v32, v4 :: v_dual_add_f32 v36, v13, v14
	v_dual_mul_f32 v12, 0x3f317218, v7 :: v_dual_fmac_f32 v15, v34, v6
	s_delay_alu instid0(VALU_DEP_2) | instskip(NEXT) | instid1(VALU_DEP_3)
	v_fmaak_f32 v4, s18, v36, 0x3e91f4c4
	v_dual_add_f32 v38, v26, v11 :: v_dual_sub_f32 v13, v36, v13
	s_delay_alu instid0(VALU_DEP_3) | instskip(NEXT) | instid1(VALU_DEP_3)
	v_fma_f32 v10, 0x3f317218, v7, -v12
	v_dual_fmaak_f32 v35, v36, v4, 0x3ecccdef :: v_dual_add_f32 v40, v31, v15
	s_delay_alu instid0(VALU_DEP_3) | instskip(SKIP_2) | instid1(VALU_DEP_4)
	v_fmaak_f32 v37, s18, v38, 0x3e91f4c4
	v_mul_f32_e32 v6, 0x3f317218, v33
	v_dual_mul_f32 v4, 0x3f317218, v44 :: v_dual_sub_f32 v13, v14, v13
	v_dual_fmaak_f32 v39, s18, v40, 0x3e91f4c4 :: v_dual_sub_f32 v14, v38, v26
	v_mul_f32_e32 v41, v36, v35
	s_delay_alu instid0(VALU_DEP_3) | instskip(NEXT) | instid1(VALU_DEP_3)
	v_fma_f32 v50, 0x3f317218, v44, -v4
	v_fmaak_f32 v39, v40, v39, 0x3ecccdef
	v_fmaak_f32 v37, v38, v37, 0x3ecccdef
	s_delay_alu instid0(VALU_DEP_4) | instskip(SKIP_1) | instid1(VALU_DEP_3)
	v_dual_fma_f32 v42, v36, v35, -v41 :: v_dual_sub_f32 v57, v11, v14
	v_fma_f32 v14, 0x3f317218, v33, -v6
	v_dual_mul_f32 v46, v40, v39 :: v_dual_mul_f32 v26, v38, v37
	v_sub_f32_e32 v31, v40, v31
	s_delay_alu instid0(VALU_DEP_4) | instskip(SKIP_2) | instid1(VALU_DEP_4)
	v_fmac_f32_e32 v42, v13, v35
	v_fmac_f32_e32 v10, 0xb102e308, v7
	;; [unrolled: 1-line block ×3, first 2 shown]
	v_dual_fma_f32 v11, v38, v37, -v26 :: v_dual_sub_f32 v58, v15, v31
	s_delay_alu instid0(VALU_DEP_4) | instskip(NEXT) | instid1(VALU_DEP_2)
	v_dual_add_f32 v35, v41, v42 :: v_dual_fma_f32 v15, v40, v39, -v46
	v_dual_fmac_f32 v50, 0xb102e308, v44 :: v_dual_fmac_f32 v11, v57, v37
	s_delay_alu instid0(VALU_DEP_2) | instskip(NEXT) | instid1(VALU_DEP_1)
	v_dual_sub_f32 v7, v35, v41 :: v_dual_fmac_f32 v15, v58, v39
	v_sub_f32_e32 v7, v42, v7
	s_delay_alu instid0(VALU_DEP_2) | instskip(NEXT) | instid1(VALU_DEP_4)
	v_add_f32_e32 v41, v46, v15
	v_add_f32_e32 v39, v26, v11
	s_delay_alu instid0(VALU_DEP_2) | instskip(NEXT) | instid1(VALU_DEP_2)
	v_dual_add_f32 v31, 0x31739010, v7 :: v_dual_sub_f32 v42, v41, v46
	v_dual_add_f32 v43, 0x3f2aaaaa, v35 :: v_dual_sub_f32 v26, v39, v26
	s_delay_alu instid0(VALU_DEP_2) | instskip(NEXT) | instid1(VALU_DEP_2)
	v_sub_f32_e32 v15, v15, v42
	v_add_f32_e32 v33, 0xbf2aaaaa, v43
	s_delay_alu instid0(VALU_DEP_1) | instskip(SKIP_1) | instid1(VALU_DEP_4)
	v_sub_f32_e32 v37, v35, v33
	v_add_f32_e32 v47, 0x3f2aaaaa, v41
	v_add_f32_e32 v35, 0x31739010, v15
	v_ldexp_f32 v15, v32, 1
	s_delay_alu instid0(VALU_DEP_4) | instskip(NEXT) | instid1(VALU_DEP_1)
	v_pk_mul_f32 v[48:49], v[30:31], v[36:37]
	v_fma_f32 v42, v36, v30, -v48
	s_delay_alu instid0(VALU_DEP_1) | instskip(SKIP_1) | instid1(VALU_DEP_2)
	v_dual_fmac_f32 v42, v36, v29 :: v_dual_add_f32 v45, 0x3f2aaaaa, v39
	v_ldexp_f32 v29, v29, 1
	v_dual_fmac_f32 v42, v13, v30 :: v_dual_add_f32 v7, 0xbf2aaaaa, v45
	s_delay_alu instid0(VALU_DEP_1) | instskip(SKIP_4) | instid1(VALU_DEP_3)
	v_sub_f32_e32 v39, v39, v7
	v_add_f32_e32 v7, 0xbf2aaaaa, v47
	v_sub_f32_e32 v11, v11, v26
	v_cndmask_b32_e64 v26, 0x7f800000, 0, s9
	s_xor_b32 s9, s20, s21
	v_sub_f32_e32 v41, v41, v7
	s_delay_alu instid0(VALU_DEP_1) | instskip(NEXT) | instid1(VALU_DEP_1)
	v_pk_mul_f32 v[54:55], v[34:35], v[40:41]
	v_fma_f32 v46, v40, v34, -v54
	v_add_f32_e32 v33, 0x31739010, v11
	v_ldexp_f32 v11, v30, 1
	s_delay_alu instid0(VALU_DEP_3) | instskip(NEXT) | instid1(VALU_DEP_3)
	v_fmac_f32_e32 v46, v40, v5
	v_pk_mul_f32 v[52:53], v[32:33], v[38:39]
	s_delay_alu instid0(VALU_DEP_2) | instskip(NEXT) | instid1(VALU_DEP_2)
	v_fmac_f32_e32 v46, v58, v34
	v_fma_f32 v44, v38, v32, -v52
	s_delay_alu instid0(VALU_DEP_1) | instskip(SKIP_4) | instid1(VALU_DEP_4)
	v_fmac_f32_e32 v44, v38, v56
	v_pk_add_f32 v[30:31], v[30:31], v[36:37]
	v_pk_add_f32 v[36:37], v[32:33], v[38:39]
	;; [unrolled: 1-line block ×3, first 2 shown]
	v_ldexp_f32 v56, v56, 1
	v_dual_fmac_f32 v44, v57, v32 :: v_dual_mov_b32 v49, v31
	s_delay_alu instid0(VALU_DEP_4) | instskip(NEXT) | instid1(VALU_DEP_2)
	v_mov_b32_e32 v53, v37
	v_pk_add_f32 v[40:41], v[48:49], v[42:43]
	v_mov_b32_e32 v55, v39
	s_delay_alu instid0(VALU_DEP_3) | instskip(NEXT) | instid1(VALU_DEP_3)
	v_pk_add_f32 v[32:33], v[52:53], v[44:45]
	v_dual_mov_b32 v30, v41 :: v_dual_sub_f32 v7, v40, v48
	s_delay_alu instid0(VALU_DEP_3) | instskip(NEXT) | instid1(VALU_DEP_3)
	v_pk_add_f32 v[34:35], v[54:55], v[46:47]
	v_dual_sub_f32 v13, v43, v41 :: v_dual_sub_f32 v38, v32, v52
	s_delay_alu instid0(VALU_DEP_3) | instskip(NEXT) | instid1(VALU_DEP_4)
	v_pk_mul_f32 v[48:49], v[40:41], v[30:31]
	v_dual_sub_f32 v7, v42, v7 :: v_dual_mov_b32 v30, v33
	s_delay_alu instid0(VALU_DEP_3) | instskip(NEXT) | instid1(VALU_DEP_4)
	v_add_f32_e32 v13, v31, v13
	v_dual_sub_f32 v42, v45, v33 :: v_dual_sub_f32 v44, v44, v38
	s_delay_alu instid0(VALU_DEP_4) | instskip(NEXT) | instid1(VALU_DEP_4)
	v_dual_fma_f32 v36, v40, v41, -v48 :: v_dual_mov_b32 v38, v35
	v_pk_mul_f32 v[30:31], v[32:33], v[30:31]
	s_delay_alu instid0(VALU_DEP_3) | instskip(NEXT) | instid1(VALU_DEP_3)
	v_dual_add_f32 v31, v37, v42 :: v_dual_mov_b32 v49, v11
	v_dual_fmac_f32 v36, v40, v13 :: v_dual_sub_f32 v13, v47, v35
	s_delay_alu instid0(VALU_DEP_4) | instskip(NEXT) | instid1(VALU_DEP_4)
	v_pk_mul_f32 v[42:43], v[34:35], v[38:39]
	v_dual_fma_f32 v38, v32, v33, -v30 :: v_dual_sub_f32 v37, v34, v54
	s_delay_alu instid0(VALU_DEP_3) | instskip(NEXT) | instid1(VALU_DEP_3)
	v_fmac_f32_e32 v36, v7, v41
	v_dual_add_f32 v7, v39, v13 :: v_dual_fma_f32 v40, v34, v35, -v42
	s_delay_alu instid0(VALU_DEP_3) | instskip(SKIP_1) | instid1(VALU_DEP_4)
	v_fmac_f32_e32 v38, v32, v31
	v_ldexp_f32 v54, v5, 1
	v_dual_add_f32 v13, v48, v36 :: v_dual_sub_f32 v5, v46, v37
	s_delay_alu instid0(VALU_DEP_3) | instskip(SKIP_1) | instid1(VALU_DEP_3)
	v_dual_fmac_f32 v40, v34, v7 :: v_dual_fmac_f32 v38, v44, v33
	v_mov_b32_e32 v31, v15
	v_pk_add_f32 v[32:33], v[12:13], v[10:11]
	v_mov_b32_e32 v34, v13
	s_delay_alu instid0(VALU_DEP_4) | instskip(NEXT) | instid1(VALU_DEP_3)
	v_dual_fmac_f32 v40, v5, v35 :: v_dual_add_f32 v7, v30, v38
	v_dual_mov_b32 v43, v51 :: v_dual_mov_b32 v35, v33
	s_delay_alu instid0(VALU_DEP_2) | instskip(NEXT) | instid1(VALU_DEP_3)
	v_dual_mov_b32 v37, v13 :: v_dual_add_f32 v5, v42, v40
	v_pk_add_f32 v[44:45], v[6:7], v[14:15]
	v_dual_mov_b32 v46, v7 :: v_dual_mov_b32 v39, v7
	s_delay_alu instid0(VALU_DEP_4) | instskip(NEXT) | instid1(VALU_DEP_4)
	v_pk_add_f32 v[34:35], v[34:35], v[48:49] neg_lo:[0,1] neg_hi:[0,1]
	v_pk_add_f32 v[48:49], v[4:5], v[50:51]
	s_delay_alu instid0(VALU_DEP_4) | instskip(SKIP_1) | instid1(VALU_DEP_4)
	v_dual_mov_b32 v52, v5 :: v_dual_mov_b32 v47, v45
	v_mov_b32_e32 v41, v5
	v_pk_add_f32 v[34:35], v[36:37], v[34:35] neg_lo:[0,1] neg_hi:[0,1]
	s_delay_alu instid0(VALU_DEP_4) | instskip(NEXT) | instid1(VALU_DEP_4)
	v_dual_mov_b32 v53, v49 :: v_dual_mov_b32 v11, v32
	v_pk_add_f32 v[30:31], v[46:47], v[30:31] neg_lo:[0,1] neg_hi:[0,1]
	s_delay_alu instid0(VALU_DEP_3) | instskip(NEXT) | instid1(VALU_DEP_3)
	v_dual_mov_b32 v15, v44 :: v_dual_add_f32 v5, v29, v34
	v_pk_add_f32 v[36:37], v[52:53], v[42:43] neg_lo:[0,1] neg_hi:[0,1]
	v_mov_b32_e32 v51, v48
	s_delay_alu instid0(VALU_DEP_4)
	v_pk_add_f32 v[30:31], v[38:39], v[30:31] neg_lo:[0,1] neg_hi:[0,1]
	v_mov_b32_e32 v38, v45
	v_add_f32_e32 v13, v5, v35
	v_pk_add_f32 v[36:37], v[40:41], v[36:37] neg_lo:[0,1] neg_hi:[0,1]
	v_mov_b32_e32 v47, v44
	v_dual_add_f32 v5, v56, v30 :: v_dual_mov_b32 v34, v33
	s_delay_alu instid0(VALU_DEP_3) | instskip(SKIP_1) | instid1(VALU_DEP_3)
	v_dual_mov_b32 v43, v32 :: v_dual_add_f32 v29, v54, v36
	v_pk_add_f32 v[40:41], v[32:33], v[12:13]
	v_add_f32_e32 v7, v5, v31
	v_pk_add_f32 v[52:53], v[32:33], v[12:13] neg_lo:[0,1] neg_hi:[0,1]
	v_mov_b32_e32 v42, v13
	v_add_f32_e32 v5, v29, v37
	v_mov_b32_e32 v53, v41
	s_delay_alu instid0(VALU_DEP_2) | instskip(SKIP_1) | instid1(VALU_DEP_3)
	v_pk_add_f32 v[54:55], v[48:49], v[4:5]
	v_pk_add_f32 v[56:57], v[48:49], v[4:5] neg_lo:[0,1] neg_hi:[0,1]
	v_pk_add_f32 v[12:13], v[10:11], v[52:53]
	v_pk_add_f32 v[10:11], v[10:11], v[52:53] neg_lo:[0,1] neg_hi:[0,1]
	s_delay_alu instid0(VALU_DEP_4) | instskip(SKIP_3) | instid1(VALU_DEP_3)
	v_dual_mov_b32 v12, v41 :: v_dual_mov_b32 v57, v55
	v_pk_add_f32 v[36:37], v[44:45], v[6:7]
	v_pk_add_f32 v[30:31], v[44:45], v[6:7] neg_lo:[0,1] neg_hi:[0,1]
	v_dual_mov_b32 v6, v13 :: v_dual_mov_b32 v46, v7
	v_dual_mov_b32 v59, v48 :: v_dual_mov_b32 v31, v37
	v_mov_b32_e32 v58, v5
	s_delay_alu instid0(VALU_DEP_3) | instskip(SKIP_1) | instid1(VALU_DEP_4)
	v_pk_add_f32 v[32:33], v[6:7], v[32:33] neg_lo:[0,1] neg_hi:[0,1]
	v_mov_b32_e32 v11, v13
	v_pk_add_f32 v[52:53], v[14:15], v[30:31]
	v_pk_add_f32 v[14:15], v[14:15], v[30:31] neg_lo:[0,1] neg_hi:[0,1]
	v_pk_add_f32 v[30:31], v[50:51], v[56:57]
	v_dual_mov_b32 v7, v32 :: v_dual_mov_b32 v35, v32
	s_delay_alu instid0(VALU_DEP_4) | instskip(SKIP_1) | instid1(VALU_DEP_4)
	v_mov_b32_e32 v4, v53
	v_pk_add_f32 v[50:51], v[50:51], v[56:57] neg_lo:[0,1] neg_hi:[0,1]
	v_dual_mov_b32 v32, v31 :: v_dual_mov_b32 v56, v49
	v_mov_b32_e32 v52, v37
	s_delay_alu instid0(VALU_DEP_4) | instskip(SKIP_1) | instid1(VALU_DEP_4)
	v_pk_add_f32 v[44:45], v[4:5], v[44:45] neg_lo:[0,1] neg_hi:[0,1]
	v_mov_b32_e32 v30, v55
	v_pk_add_f32 v[48:49], v[32:33], v[48:49] neg_lo:[0,1] neg_hi:[0,1]
	v_pk_add_f32 v[34:35], v[12:13], v[34:35] neg_lo:[0,1] neg_hi:[0,1]
	;; [unrolled: 1-line block ×3, first 2 shown]
	v_dual_mov_b32 v39, v44 :: v_dual_mov_b32 v5, v44
	s_delay_alu instid0(VALU_DEP_4) | instskip(SKIP_1) | instid1(VALU_DEP_3)
	v_dual_mov_b32 v57, v48 :: v_dual_mov_b32 v7, v48
	v_mov_b32_e32 v40, v10
	v_pk_add_f32 v[38:39], v[52:53], v[38:39] neg_lo:[0,1] neg_hi:[0,1]
	v_pk_add_f32 v[34:35], v[42:43], v[34:35] neg_lo:[0,1] neg_hi:[0,1]
	s_delay_alu instid0(VALU_DEP_4)
	v_pk_add_f32 v[44:45], v[30:31], v[56:57] neg_lo:[0,1] neg_hi:[0,1]
	v_pk_add_f32 v[36:37], v[36:37], v[4:5] neg_lo:[0,1] neg_hi:[0,1]
	;; [unrolled: 1-line block ×3, first 2 shown]
	v_dual_mov_b32 v36, v14 :: v_dual_mov_b32 v42, v50
	v_pk_add_f32 v[38:39], v[46:47], v[38:39] neg_lo:[0,1] neg_hi:[0,1]
	v_pk_add_f32 v[44:45], v[58:59], v[44:45] neg_lo:[0,1] neg_hi:[0,1]
	v_pk_add_f32 v[40:41], v[40:41], v[34:35]
	v_cndmask_b32_e64 v54, 0x7f800000, 0, s6
	v_cmp_neq_f32_e64 s6, v28, v25
	v_pk_add_f32 v[36:37], v[36:37], v[38:39]
	v_pk_add_f32 v[42:43], v[42:43], v[44:45]
	v_dual_mov_b32 v12, v41 :: v_dual_mov_b32 v51, v31
	v_cndmask_b32_e64 v52, 0x7f800000, 0, s9
	s_delay_alu instid0(VALU_DEP_3) | instskip(NEXT) | instid1(VALU_DEP_3)
	v_dual_mov_b32 v30, v37 :: v_dual_mov_b32 v28, v43
	v_pk_add_f32 v[46:47], v[40:41], v[12:13]
	s_xor_b32 s9, s19, s22
	s_delay_alu instid0(VALU_DEP_2) | instskip(NEXT) | instid1(VALU_DEP_3)
	v_pk_add_f32 v[48:49], v[36:37], v[30:31]
	v_pk_add_f32 v[28:29], v[42:43], v[28:29]
	s_delay_alu instid0(VALU_DEP_3)
	v_pk_add_f32 v[6:7], v[6:7], v[46:47]
	v_mov_b32_e32 v15, v53
	v_cndmask_b32_e64 v25, 0x7f800000, 0, s9
	v_pk_add_f32 v[4:5], v[4:5], v[48:49]
	v_pk_add_f32 v[12:13], v[32:33], v[28:29]
	v_dual_mov_b32 v41, v6 :: v_dual_mov_b32 v35, v46
	v_dual_mov_b32 v39, v48 :: v_dual_mov_b32 v45, v28
	s_delay_alu instid0(VALU_DEP_3) | instskip(NEXT) | instid1(VALU_DEP_3)
	v_dual_mov_b32 v37, v4 :: v_dual_mov_b32 v43, v12
	v_pk_add_f32 v[30:31], v[40:41], v[10:11] neg_lo:[0,1] neg_hi:[0,1]
	s_delay_alu instid0(VALU_DEP_2) | instskip(NEXT) | instid1(VALU_DEP_3)
	v_pk_add_f32 v[32:33], v[36:37], v[14:15] neg_lo:[0,1] neg_hi:[0,1]
	v_pk_add_f32 v[28:29], v[42:43], v[50:51] neg_lo:[0,1] neg_hi:[0,1]
	s_delay_alu instid0(VALU_DEP_3) | instskip(NEXT) | instid1(VALU_DEP_4)
	v_sub_f32_e32 v5, v40, v30
	v_pk_add_f32 v[30:31], v[34:35], v[30:31] neg_lo:[0,1] neg_hi:[0,1]
	s_delay_alu instid0(VALU_DEP_3) | instskip(NEXT) | instid1(VALU_DEP_3)
	v_sub_f32_e32 v13, v42, v28
	v_dual_sub_f32 v7, v36, v32 :: v_dual_sub_f32 v5, v10, v5
	v_pk_add_f32 v[32:33], v[38:39], v[32:33] neg_lo:[0,1] neg_hi:[0,1]
	v_pk_add_f32 v[10:11], v[44:45], v[28:29] neg_lo:[0,1] neg_hi:[0,1]
	s_delay_alu instid0(VALU_DEP_3)
	v_sub_f32_e32 v7, v14, v7
	v_cndmask_b32_e64 v14, 0x7f800000, 0, s5
	s_and_b32 s5, s0, s8
	v_cmp_neq_f32_e64 s8, |v22|, 1.0
	v_dual_add_f32 v5, v30, v5 :: v_dual_cndmask_b32 v15, 1.0, v22, s5
	v_dual_sub_f32 v13, v50, v13 :: v_dual_add_f32 v7, v32, v7
	s_delay_alu instid0(VALU_DEP_1) | instskip(NEXT) | instid1(VALU_DEP_2)
	v_dual_add_f32 v10, v10, v13 :: v_dual_cndmask_b32 v13, 1.0, v27, s8
	v_dual_add_f32 v5, v5, v31 :: v_dual_add_f32 v7, v7, v33
	s_delay_alu instid0(VALU_DEP_2) | instskip(SKIP_1) | instid1(VALU_DEP_2)
	v_dual_cndmask_b32 v27, 0, v22, s5 :: v_dual_add_f32 v10, v10, v11
	s_and_b32 s5, s2, s7
	v_dual_add_f32 v11, v6, v5 :: v_dual_add_f32 v28, v4, v7
	v_cmp_neq_f32_e64 s7, |v23|, 1.0
	s_delay_alu instid0(VALU_DEP_2) | instskip(SKIP_1) | instid1(VALU_DEP_4)
	v_dual_sub_f32 v6, v11, v6 :: v_dual_cndmask_b32 v29, 1.0, v23, s5
	v_dual_add_f32 v30, v12, v10 :: v_dual_mul_f32 v31, v19, v11
	v_sub_f32_e32 v4, v28, v4
	s_delay_alu instid0(VALU_DEP_3) | instskip(NEXT) | instid1(VALU_DEP_3)
	v_dual_mul_f32 v32, v20, v28 :: v_dual_sub_f32 v5, v5, v6
	v_dual_sub_f32 v12, v30, v12 :: v_dual_mul_f32 v33, v21, v30
	s_delay_alu instid0(VALU_DEP_4) | instskip(NEXT) | instid1(VALU_DEP_4)
	v_fma_f32 v6, v19, v11, -v31
	v_sub_f32_e32 v4, v7, v4
	s_delay_alu instid0(VALU_DEP_4) | instskip(NEXT) | instid1(VALU_DEP_4)
	v_fma_f32 v7, v20, v28, -v32
	v_dual_sub_f32 v10, v10, v12 :: v_dual_fma_f32 v11, v21, v30, -v33
	s_delay_alu instid0(VALU_DEP_4) | instskip(NEXT) | instid1(VALU_DEP_3)
	v_dual_fmac_f32 v6, v19, v5 :: v_dual_cndmask_b32 v5, 1.0, v52, s7
	v_dual_cndmask_b32 v12, 0, v23, s5 :: v_dual_fmac_f32 v7, v20, v4
	s_and_b32 s5, s3, s6
	s_delay_alu instid0(VALU_DEP_3) | instid1(SALU_CYCLE_1)
	v_dual_fmac_f32 v11, v21, v10 :: v_dual_cndmask_b32 v10, 1.0, v24, s5
	s_delay_alu instid0(VALU_DEP_3) | instskip(SKIP_1) | instid1(VALU_DEP_3)
	v_add_f32_e32 v4, v31, v6
	v_cmp_class_f32_e64 s6, v31, 0x204
	v_add_f32_e32 v30, v33, v11
	v_add_f32_e32 v28, v32, v7
	s_delay_alu instid0(VALU_DEP_3) | instskip(SKIP_1) | instid1(VALU_DEP_2)
	v_dual_sub_f32 v34, v4, v31 :: v_dual_cndmask_b32 v4, v4, v31, s6
	v_cmp_class_f32_e64 s6, v32, 0x204
	v_dual_sub_f32 v31, v28, v32 :: v_dual_sub_f32 v6, v6, v34
	s_delay_alu instid0(VALU_DEP_2) | instskip(SKIP_1) | instid1(VALU_DEP_3)
	v_cndmask_b32_e64 v28, v28, v32, s6
	v_cmp_class_f32_e64 s6, v33, 0x204
	v_dual_sub_f32 v32, v30, v33 :: v_dual_sub_f32 v7, v7, v31
	s_delay_alu instid0(VALU_DEP_2) | instskip(SKIP_1) | instid1(VALU_DEP_1)
	v_cndmask_b32_e64 v30, v30, v33, s6
	v_cmp_eq_f32_e64 s6, 0x42b17218, v4
	v_cndmask_b32_e64 v33, 0, 0x37000000, s6
	v_cmp_eq_f32_e64 s6, 0x42b17218, v28
	s_delay_alu instid0(VALU_DEP_2) | instskip(NEXT) | instid1(VALU_DEP_2)
	v_dual_sub_f32 v11, v11, v32 :: v_dual_sub_f32 v34, v4, v33
	v_cndmask_b32_e64 v31, 0, 0x37000000, s6
	v_cmp_eq_f32_e64 s6, 0x42b17218, v30
	s_delay_alu instid0(VALU_DEP_1) | instskip(SKIP_1) | instid1(VALU_DEP_1)
	v_cndmask_b32_e64 v32, 0, 0x37000000, s6
	v_cmp_neq_f32_e64 s6, 0x7f800000, |v4|
	v_dual_sub_f32 v35, v28, v31 :: v_dual_cndmask_b32 v4, 0, v6, s6
	s_delay_alu instid0(VALU_DEP_1) | instskip(SKIP_1) | instid1(VALU_DEP_3)
	v_dual_sub_f32 v6, v30, v32 :: v_dual_mul_f32 v37, 0x3fb8aa3b, v35
	v_cmp_neq_f32_e64 s6, 0x7f800000, |v28|
	v_add_f32_e32 v4, v33, v4
	s_delay_alu instid0(VALU_DEP_3) | instskip(SKIP_2) | instid1(VALU_DEP_3)
	v_rndne_f32_e32 v41, v37
	v_mul_f32_e32 v36, 0x3fb8aa3b, v34
	v_fma_f32 v40, 0x3fb8aa3b, v35, -v37
	v_sub_f32_e32 v37, v37, v41
	s_delay_alu instid0(VALU_DEP_3) | instskip(SKIP_1) | instid1(VALU_DEP_4)
	v_fma_f32 v38, 0x3fb8aa3b, v34, -v36
	v_rndne_f32_e32 v39, v36
	v_fmac_f32_e32 v40, 0x32a5705f, v35
	s_delay_alu instid0(VALU_DEP_3) | instskip(NEXT) | instid1(VALU_DEP_3)
	v_fmac_f32_e32 v38, 0x32a5705f, v34
	v_sub_f32_e32 v36, v36, v39
	v_cndmask_b32_e64 v7, 0, v7, s6
	v_cmp_neq_f32_e64 s6, 0x7f800000, |v30|
	v_add_f32_e32 v30, v37, v40
	v_cvt_i32_f32_e32 v37, v41
	s_delay_alu instid0(VALU_DEP_3) | instskip(NEXT) | instid1(VALU_DEP_3)
	v_cndmask_b32_e64 v11, 0, v11, s6
	v_exp_f32_e32 v30, v30
	v_cmp_ngt_f32_e64 s6, 0xc2ce8ed0, v34
	s_delay_alu instid0(VALU_DEP_2) | instskip(SKIP_2) | instid1(TRANS32_DEP_1)
	v_add_f32_e32 v11, v32, v11
	v_add_f32_e32 v36, v36, v38
	v_dual_mul_f32 v28, 0x3fb8aa3b, v6 :: v_dual_add_f32 v7, v31, v7
	v_ldexp_f32 v30, v30, v37
	s_delay_alu instid0(VALU_DEP_3) | instskip(NEXT) | instid1(VALU_DEP_2)
	v_exp_f32_e32 v33, v36
	v_fma_f32 v42, 0x3fb8aa3b, v6, -v28
	v_rndne_f32_e32 v43, v28
	v_cvt_i32_f32_e32 v36, v39
	s_delay_alu instid0(VALU_DEP_3) | instskip(NEXT) | instid1(VALU_DEP_3)
	v_fmac_f32_e32 v42, 0x32a5705f, v6
	v_sub_f32_e32 v28, v28, v43
	s_delay_alu instid0(TRANS32_DEP_1) | instid1(VALU_DEP_3)
	v_ldexp_f32 v31, v33, v36
	v_cvt_i32_f32_e32 v38, v43
	s_delay_alu instid0(VALU_DEP_2) | instskip(SKIP_1) | instid1(VALU_DEP_2)
	v_dual_add_f32 v28, v28, v42 :: v_dual_cndmask_b32 v31, 0, v31, s6
	v_cmp_ngt_f32_e64 s6, 0xc2ce8ed0, v35
	v_exp_f32_e32 v28, v28
	s_delay_alu instid0(VALU_DEP_1) | instskip(SKIP_1) | instid1(TRANS32_DEP_1)
	v_cndmask_b32_e64 v30, 0, v30, s6
	v_cmp_ngt_f32_e64 s6, 0xc2ce8ed0, v6
	v_ldexp_f32 v28, v28, v38
	s_delay_alu instid0(VALU_DEP_1) | instskip(SKIP_1) | instid1(VALU_DEP_1)
	v_cndmask_b32_e64 v28, 0, v28, s6
	v_cmp_nlt_f32_e64 s6, 0x42b17218, v34
	v_cndmask_b32_e64 v31, 0x7f800000, v31, s6
	v_cmp_nlt_f32_e64 s6, 0x42b17218, v35
	s_delay_alu instid0(VALU_DEP_1) | instskip(SKIP_1) | instid1(VALU_DEP_2)
	v_cndmask_b32_e64 v30, 0x7f800000, v30, s6
	v_cmp_nlt_f32_e64 s6, 0x42b17218, v6
	v_dual_fma_f32 v4, v31, v4, v31 :: v_dual_fma_f32 v7, v30, v7, v30
	s_delay_alu instid0(VALU_DEP_2) | instskip(SKIP_1) | instid1(VALU_DEP_1)
	v_cndmask_b32_e64 v6, 0x7f800000, v28, s6
	v_cmp_neq_f32_e64 s6, |v24|, 1.0
	v_cndmask_b32_e64 v25, 1.0, v25, s6
	v_cmp_class_f32_e64 s6, v31, 0x204
	s_delay_alu instid0(VALU_DEP_1) | instskip(SKIP_1) | instid1(VALU_DEP_1)
	v_cndmask_b32_e64 v4, v4, v31, s6
	v_cmp_class_f32_e64 s6, v30, 0x204
	v_dual_fma_f32 v11, v6, v11, v6 :: v_dual_cndmask_b32 v7, v7, v30, s6
	v_cmp_class_f32_e64 s6, v6, 0x204
	s_delay_alu instid0(VALU_DEP_2) | instskip(NEXT) | instid1(VALU_DEP_2)
	v_bfi_b32 v7, 0x7fffffff, v7, v29
	v_cndmask_b32_e64 v6, v11, v6, s6
	v_bfi_b32 v4, 0x7fffffff, v4, v15
	v_bfi_b32 v15, 0x7fffffff, v26, v27
	s_delay_alu instid0(VALU_DEP_3) | instskip(SKIP_1) | instid1(VALU_DEP_4)
	v_bfi_b32 v6, 0x7fffffff, v6, v10
	v_bfi_b32 v10, 0x7fffffff, v54, v12
	v_cndmask_b32_e64 v12, 0x7fc00000, v4, s0
	v_cmp_gt_f32_e64 s0, 0, v22
	s_delay_alu instid0(VALU_DEP_4) | instskip(NEXT) | instid1(VALU_DEP_2)
	v_cndmask_b32_e64 v26, 0x7fc00000, v6, s3
	v_cndmask_b32_e64 v4, v4, v12, s0
	v_cmp_gt_f32_e64 s0, 0, v23
	v_cndmask_b32_e64 v11, 0, v24, s5
	s_delay_alu instid0(VALU_DEP_1) | instskip(SKIP_1) | instid1(VALU_DEP_1)
	v_bfi_b32 v11, 0x7fffffff, v14, v11
	v_cndmask_b32_e64 v14, 0x7fc00000, v7, s2
	v_cndmask_b32_e64 v7, v7, v14, s0
	v_cmp_gt_f32_e64 s0, 0, v24
	s_delay_alu instid0(VALU_DEP_1) | instskip(SKIP_1) | instid1(VALU_DEP_1)
	v_cndmask_b32_e64 v6, v6, v26, s0
	v_cmp_class_f32_e64 s0, v19, 0x204
	v_cndmask_b32_e64 v4, v4, v13, s0
	v_cmp_class_f32_e64 s0, v20, 0x204
	s_delay_alu instid0(VALU_DEP_1) | instskip(SKIP_2) | instid1(SALU_CYCLE_1)
	v_dual_cndmask_b32 v4, v4, v15, vcc_lo :: v_dual_cndmask_b32 v5, v7, v5, s0
	v_cmp_class_f32_e64 s0, v21, 0x204
	s_or_b32 vcc_lo, s1, s16
	v_dual_cndmask_b32 v5, v5, v10, vcc_lo :: v_dual_cndmask_b32 v6, v6, v25, s0
	s_or_b32 vcc_lo, s4, s17
	s_delay_alu instid0(VALU_DEP_1)
	v_cndmask_b32_e32 v6, v6, v11, vcc_lo
	v_cmp_o_f32_e32 vcc_lo, v22, v19
	v_cndmask_b32_e32 v4, 0x7fc00000, v4, vcc_lo
	v_cmp_o_f32_e32 vcc_lo, v23, v20
	;; [unrolled: 2-line block ×3, first 2 shown]
	v_cndmask_b32_e32 v6, 0x7fc00000, v6, vcc_lo
	s_delay_alu instid0(VALU_DEP_1)
	v_dual_mul_f32 v6, v6, v18 :: v_dual_mul_f32 v5, v5, v18
	v_mul_f32_e32 v4, v4, v18
	s_clause 0x2
	global_store_b32 v[8:9], v4, off
	global_store_b32 v[2:3], v5, off
	;; [unrolled: 1-line block ×3, first 2 shown]
	s_wait_loadcnt 0x0
	global_store_b32 v16, v17, s[14:15] scale_offset
	s_endpgm
	.section	.rodata,"a",@progbits
	.p2align	6, 0x0
	.amdhsa_kernel _Z11toneMappingPKfPfffffjjj
		.amdhsa_group_segment_fixed_size 0
		.amdhsa_private_segment_fixed_size 0
		.amdhsa_kernarg_size 304
		.amdhsa_user_sgpr_count 2
		.amdhsa_user_sgpr_dispatch_ptr 0
		.amdhsa_user_sgpr_queue_ptr 0
		.amdhsa_user_sgpr_kernarg_segment_ptr 1
		.amdhsa_user_sgpr_dispatch_id 0
		.amdhsa_user_sgpr_kernarg_preload_length 0
		.amdhsa_user_sgpr_kernarg_preload_offset 0
		.amdhsa_user_sgpr_private_segment_size 0
		.amdhsa_wavefront_size32 1
		.amdhsa_uses_dynamic_stack 0
		.amdhsa_enable_private_segment 0
		.amdhsa_system_sgpr_workgroup_id_x 1
		.amdhsa_system_sgpr_workgroup_id_y 1
		.amdhsa_system_sgpr_workgroup_id_z 0
		.amdhsa_system_sgpr_workgroup_info 0
		.amdhsa_system_vgpr_workitem_id 1
		.amdhsa_next_free_vgpr 60
		.amdhsa_next_free_sgpr 24
		.amdhsa_named_barrier_count 0
		.amdhsa_reserve_vcc 1
		.amdhsa_float_round_mode_32 0
		.amdhsa_float_round_mode_16_64 0
		.amdhsa_float_denorm_mode_32 3
		.amdhsa_float_denorm_mode_16_64 3
		.amdhsa_fp16_overflow 0
		.amdhsa_memory_ordered 1
		.amdhsa_forward_progress 1
		.amdhsa_inst_pref_size 45
		.amdhsa_round_robin_scheduling 0
		.amdhsa_exception_fp_ieee_invalid_op 0
		.amdhsa_exception_fp_denorm_src 0
		.amdhsa_exception_fp_ieee_div_zero 0
		.amdhsa_exception_fp_ieee_overflow 0
		.amdhsa_exception_fp_ieee_underflow 0
		.amdhsa_exception_fp_ieee_inexact 0
		.amdhsa_exception_int_div_zero 0
	.end_amdhsa_kernel
	.text
.Lfunc_end0:
	.size	_Z11toneMappingPKfPfffffjjj, .Lfunc_end0-_Z11toneMappingPKfPfffffjjj
                                        ; -- End function
	.set _Z11toneMappingPKfPfffffjjj.num_vgpr, 60
	.set _Z11toneMappingPKfPfffffjjj.num_agpr, 0
	.set _Z11toneMappingPKfPfffffjjj.numbered_sgpr, 24
	.set _Z11toneMappingPKfPfffffjjj.num_named_barrier, 0
	.set _Z11toneMappingPKfPfffffjjj.private_seg_size, 0
	.set _Z11toneMappingPKfPfffffjjj.uses_vcc, 1
	.set _Z11toneMappingPKfPfffffjjj.uses_flat_scratch, 0
	.set _Z11toneMappingPKfPfffffjjj.has_dyn_sized_stack, 0
	.set _Z11toneMappingPKfPfffffjjj.has_recursion, 0
	.set _Z11toneMappingPKfPfffffjjj.has_indirect_call, 0
	.section	.AMDGPU.csdata,"",@progbits
; Kernel info:
; codeLenInByte = 5672
; TotalNumSgprs: 26
; NumVgprs: 60
; ScratchSize: 0
; MemoryBound: 0
; FloatMode: 240
; IeeeMode: 1
; LDSByteSize: 0 bytes/workgroup (compile time only)
; SGPRBlocks: 0
; VGPRBlocks: 3
; NumSGPRsForWavesPerEU: 26
; NumVGPRsForWavesPerEU: 60
; NamedBarCnt: 0
; Occupancy: 16
; WaveLimiterHint : 0
; COMPUTE_PGM_RSRC2:SCRATCH_EN: 0
; COMPUTE_PGM_RSRC2:USER_SGPR: 2
; COMPUTE_PGM_RSRC2:TRAP_HANDLER: 0
; COMPUTE_PGM_RSRC2:TGID_X_EN: 1
; COMPUTE_PGM_RSRC2:TGID_Y_EN: 1
; COMPUTE_PGM_RSRC2:TGID_Z_EN: 0
; COMPUTE_PGM_RSRC2:TIDIG_COMP_CNT: 1
	.text
	.p2alignl 7, 3214868480
	.fill 96, 4, 3214868480
	.section	.AMDGPU.gpr_maximums,"",@progbits
	.set amdgpu.max_num_vgpr, 0
	.set amdgpu.max_num_agpr, 0
	.set amdgpu.max_num_sgpr, 0
	.text
	.type	__hip_cuid_fbd934ea54ad938c,@object ; @__hip_cuid_fbd934ea54ad938c
	.section	.bss,"aw",@nobits
	.globl	__hip_cuid_fbd934ea54ad938c
__hip_cuid_fbd934ea54ad938c:
	.byte	0                               ; 0x0
	.size	__hip_cuid_fbd934ea54ad938c, 1

	.ident	"AMD clang version 22.0.0git (https://github.com/RadeonOpenCompute/llvm-project roc-7.2.4 26084 f58b06dce1f9c15707c5f808fd002e18c2accf7e)"
	.section	".note.GNU-stack","",@progbits
	.addrsig
	.addrsig_sym __hip_cuid_fbd934ea54ad938c
	.amdgpu_metadata
---
amdhsa.kernels:
  - .args:
      - .actual_access:  read_only
        .address_space:  global
        .offset:         0
        .size:           8
        .value_kind:     global_buffer
      - .actual_access:  write_only
        .address_space:  global
        .offset:         8
        .size:           8
        .value_kind:     global_buffer
      - .offset:         16
        .size:           4
        .value_kind:     by_value
      - .offset:         20
        .size:           4
        .value_kind:     by_value
      - .offset:         24
        .size:           4
        .value_kind:     by_value
      - .offset:         28
        .size:           4
        .value_kind:     by_value
      - .offset:         32
        .size:           4
        .value_kind:     by_value
      - .offset:         36
        .size:           4
        .value_kind:     by_value
      - .offset:         40
        .size:           4
        .value_kind:     by_value
      - .offset:         48
        .size:           4
        .value_kind:     hidden_block_count_x
      - .offset:         52
        .size:           4
        .value_kind:     hidden_block_count_y
      - .offset:         56
        .size:           4
        .value_kind:     hidden_block_count_z
      - .offset:         60
        .size:           2
        .value_kind:     hidden_group_size_x
      - .offset:         62
        .size:           2
        .value_kind:     hidden_group_size_y
      - .offset:         64
        .size:           2
        .value_kind:     hidden_group_size_z
      - .offset:         66
        .size:           2
        .value_kind:     hidden_remainder_x
      - .offset:         68
        .size:           2
        .value_kind:     hidden_remainder_y
      - .offset:         70
        .size:           2
        .value_kind:     hidden_remainder_z
      - .offset:         88
        .size:           8
        .value_kind:     hidden_global_offset_x
      - .offset:         96
        .size:           8
        .value_kind:     hidden_global_offset_y
      - .offset:         104
        .size:           8
        .value_kind:     hidden_global_offset_z
      - .offset:         112
        .size:           2
        .value_kind:     hidden_grid_dims
    .group_segment_fixed_size: 0
    .kernarg_segment_align: 8
    .kernarg_segment_size: 304
    .language:       OpenCL C
    .language_version:
      - 2
      - 0
    .max_flat_workgroup_size: 1024
    .name:           _Z11toneMappingPKfPfffffjjj
    .private_segment_fixed_size: 0
    .sgpr_count:     26
    .sgpr_spill_count: 0
    .symbol:         _Z11toneMappingPKfPfffffjjj.kd
    .uniform_work_group_size: 1
    .uses_dynamic_stack: false
    .vgpr_count:     60
    .vgpr_spill_count: 0
    .wavefront_size: 32
amdhsa.target:   amdgcn-amd-amdhsa--gfx1250
amdhsa.version:
  - 1
  - 2
...

	.end_amdgpu_metadata
